;; amdgpu-corpus repo=ROCm/AMDMIGraphX kind=compiled arch=gfx906 opt=O3
	.text
	.amdgcn_target "amdgcn-amd-amdhsa--gfx906"
	.amdhsa_code_object_version 6
	.protected	math_ops_f32            ; -- Begin function math_ops_f32
	.globl	math_ops_f32
	.p2align	8
	.type	math_ops_f32,@function
math_ops_f32:                           ; @math_ops_f32
; %bb.0:
	s_load_dword s0, s[4:5], 0x1c
	s_waitcnt lgkmcnt(0)
	s_and_b32 s0, s0, 0xffff
	s_mul_i32 s6, s6, s0
	v_add_u32_e32 v0, s6, v0
	s_mov_b32 s0, 0x10000
	v_cmp_gt_u32_e32 vcc, s0, v0
	s_and_saveexec_b64 s[0:1], vcc
	s_cbranch_execz .LBB0_15
; %bb.1:
	s_load_dwordx4 s[0:3], s[4:5], 0x0
	v_mov_b32_e32 v1, 0
	v_lshlrev_b64 v[4:5], 2, v[0:1]
	v_add_u32_e32 v6, 0xffffc000, v0
	s_mov_b64 s[6:7], 0
	s_waitcnt lgkmcnt(0)
	v_mov_b32_e32 v0, s1
	v_add_co_u32_e32 v2, vcc, s0, v4
	v_addc_co_u32_e32 v3, vcc, v0, v5, vcc
	v_mov_b32_e32 v0, s3
	v_add_co_u32_e32 v4, vcc, s2, v4
	v_addc_co_u32_e32 v5, vcc, v0, v5, vcc
	s_brev_b32 s12, -2
	s_brev_b32 s13, 18
	s_mov_b32 s14, 0x800000
	s_mov_b32 s15, 0xfe5163ab
	;; [unrolled: 1-line block ×16, first 2 shown]
	v_mov_b32_e32 v7, 0xbd5c1c4e
	v_mov_b32_e32 v8, 0x3e088382
	;; [unrolled: 1-line block ×3, first 2 shown]
	s_mov_b32 s30, 0xf800000
	s_mov_b32 s31, 0x4f800000
	v_mov_b32_e32 v10, 0x260
	s_movk_i32 s33, 0x1f8
	v_mov_b32_e32 v11, 0xbe2aaa9d
	v_mov_b32_e32 v12, 0x3d2aabf7
	;; [unrolled: 1-line block ×3, first 2 shown]
	s_mov_b32 s34, 0x3f317217
	s_mov_b32 s35, 0xbfff
	v_not_b32_e32 v14, 63
	v_not_b32_e32 v15, 31
	v_mov_b32_e32 v16, 0x7fc00000
	v_mov_b32_e32 v17, 0x4f800000
	v_mov_b32_e32 v18, 0x41b17218
	s_branch .LBB0_3
.LBB0_2:                                ;   in Loop: Header=BB0_3 Depth=1
	s_or_b64 exec, exec, s[0:1]
	v_mul_f32_e64 v24, |v19|, s31
	v_cmp_lt_f32_e64 vcc, |v19|, s30
	v_cndmask_b32_e64 v24, |v19|, v24, vcc
	v_sqrt_f32_e32 v26, v24
	v_xor_b32_e32 v20, v20, v19
	v_add_u32_e32 v6, 0x4000, v6
	v_add_u32_e32 v27, -1, v26
	v_fma_f32 v29, -v27, v26, v24
	v_add_u32_e32 v28, 1, v26
	v_cmp_ge_f32_e64 s[0:1], 0, v29
	v_cndmask_b32_e64 v27, v26, v27, s[0:1]
	v_fma_f32 v26, -v28, v26, v24
	v_cmp_lt_f32_e64 s[0:1], 0, v26
	v_cndmask_b32_e64 v26, v27, v28, s[0:1]
	v_mul_f32_e32 v27, 0x37800000, v26
	v_cndmask_b32_e32 v26, v26, v27, vcc
	v_cmp_class_f32_e32 vcc, v24, v10
	v_cndmask_b32_e32 v24, v26, v24, vcc
	v_lshlrev_b32_e32 v26, 30, v22
	v_and_b32_e32 v26, 0x80000000, v26
	v_xor_b32_e32 v20, v20, v26
	v_mul_f32_e32 v26, v21, v21
	v_mov_b32_e32 v27, 0x3c0881c4
	v_fmac_f32_e32 v27, 0xb94c1982, v26
	v_fma_f32 v27, v26, v27, v11
	v_mul_f32_e32 v27, v26, v27
	v_fmac_f32_e32 v21, v21, v27
	v_mov_b32_e32 v27, 0xbab64f3b
	v_fmac_f32_e32 v27, 0x37d75334, v26
	v_fma_f32 v27, v26, v27, v12
	v_and_b32_e32 v22, 1, v22
	v_fma_f32 v27, v26, v27, v13
	v_fma_f32 v26, v26, v27, 1.0
	v_cmp_eq_u32_e32 vcc, 0, v22
	v_cndmask_b32_e32 v21, v26, v21, vcc
	v_xor_b32_e32 v20, v20, v21
	v_lshlrev_b32_e32 v21, 30, v25
	v_and_b32_e32 v22, 1, v25
	v_mul_f32_e32 v25, v0, v0
	v_mov_b32_e32 v26, 0xbab64f3b
	v_fmac_f32_e32 v26, 0x37d75334, v25
	v_mov_b32_e32 v27, 0x3c0881c4
	v_fma_f32 v26, v25, v26, v12
	v_fmac_f32_e32 v27, 0xb94c1982, v25
	v_fma_f32 v26, v25, v26, v13
	v_fma_f32 v27, v25, v27, v11
	v_fma_f32 v26, v25, v26, 1.0
	v_mul_f32_e32 v25, v25, v27
	v_fmac_f32_e32 v0, v0, v25
	v_cmp_eq_u32_e32 vcc, 0, v22
	v_and_b32_e32 v21, 0x80000000, v21
	v_cndmask_b32_e64 v0, -v0, v26, vcc
	v_xor_b32_e32 v0, v21, v0
	v_mul_f32_e32 v0, v20, v0
	v_cmp_class_f32_e64 vcc, v19, s33
	v_add_f32_e64 v20, |v19|, 1.0
	v_cndmask_b32_e32 v0, v16, v0, vcc
	v_cmp_gt_f32_e32 vcc, s14, v20
	v_cndmask_b32_e32 v21, 1.0, v17, vcc
	v_mul_f32_e32 v20, v20, v21
	v_log_f32_e32 v20, v20
	v_add_f32_e32 v0, v24, v0
	v_bfi_b32 v19, s12, v23, v19
	v_add_f32_e32 v0, v0, v19
	v_mul_f32_e32 v19, 0x3f317217, v20
	v_fma_f32 v21, v20, s34, -v19
	v_fmac_f32_e32 v21, 0x3377d1cf, v20
	v_add_f32_e32 v19, v19, v21
	v_cmp_lt_f32_e64 s[0:1], |v20|, s29
	v_cndmask_b32_e64 v19, v20, v19, s[0:1]
	v_cndmask_b32_e32 v20, 0, v18, vcc
	v_sub_f32_e32 v19, v19, v20
	v_add_co_u32_e32 v2, vcc, 0x10000, v2
	v_add_f32_e32 v0, v19, v0
	v_addc_co_u32_e32 v3, vcc, 0, v3, vcc
	global_store_dword v[4:5], v0, off
	v_add_co_u32_e32 v4, vcc, 0x10000, v4
	v_cmp_lt_u32_e64 s[0:1], s35, v6
	s_or_b64 s[6:7], s[0:1], s[6:7]
	v_addc_co_u32_e32 v5, vcc, 0, v5, vcc
	s_andn2_b64 exec, exec, s[6:7]
	s_cbranch_execz .LBB0_15
.LBB0_3:                                ; =>This Inner Loop Header: Depth=1
	global_load_dword v19, v[2:3], off
                                        ; implicit-def: $vgpr22
	s_waitcnt vmcnt(0)
	v_and_b32_e32 v20, 0x7fffffff, v19
	v_lshrrev_b32_e32 v0, 23, v20
	v_and_b32_e32 v21, 0x7fffff, v20
	v_cmp_nlt_f32_e64 s[8:9], |v19|, s13
	v_add_u32_e32 v24, 0xffffff88, v0
	v_or_b32_e32 v23, 0x800000, v21
                                        ; implicit-def: $vgpr21
	s_and_saveexec_b64 s[0:1], s[8:9]
	s_xor_b64 s[10:11], exec, s[0:1]
	s_cbranch_execz .LBB0_5
; %bb.4:                                ;   in Loop: Header=BB0_3 Depth=1
	v_mad_u64_u32 v[21:22], s[0:1], v23, s15, 0
	v_cmp_lt_u32_e32 vcc, 63, v24
	v_mov_b32_e32 v0, v22
	v_mad_u64_u32 v[25:26], s[0:1], v23, s16, v[0:1]
	v_mov_b32_e32 v0, v26
	v_mad_u64_u32 v[26:27], s[0:1], v23, s17, v[0:1]
	;; [unrolled: 2-line block ×3, first 2 shown]
	v_cndmask_b32_e32 v0, 0, v14, vcc
	v_add_u32_e32 v22, v0, v24
	v_mov_b32_e32 v0, v28
	v_mad_u64_u32 v[28:29], s[0:1], v23, s19, v[0:1]
	v_cmp_lt_u32_e64 s[0:1], 31, v22
	v_cndmask_b32_e64 v0, 0, v15, s[0:1]
	v_add_u32_e32 v22, v0, v22
	v_mov_b32_e32 v0, v29
	v_mad_u64_u32 v[29:30], s[2:3], v23, s20, v[0:1]
	v_cmp_lt_u32_e64 s[2:3], 31, v22
	v_cndmask_b32_e64 v0, 0, v15, s[2:3]
	v_add_u32_e32 v22, v0, v22
	v_mov_b32_e32 v0, v30
	v_mad_u64_u32 v[30:31], s[4:5], v23, s21, v[0:1]
	v_cndmask_b32_e32 v0, v28, v26, vcc
	v_cndmask_b32_e32 v32, v29, v27, vcc
	;; [unrolled: 1-line block ×4, first 2 shown]
	v_cndmask_b32_e64 v33, v32, v0, s[0:1]
	v_cndmask_b32_e64 v30, v28, v32, s[0:1]
	;; [unrolled: 1-line block ×3, first 2 shown]
	v_cndmask_b32_e32 v25, v27, v25, vcc
	v_cndmask_b32_e64 v28, v28, v30, s[2:3]
	v_cndmask_b32_e64 v29, v30, v33, s[2:3]
	v_sub_u32_e32 v30, 32, v22
	v_cndmask_b32_e64 v0, v0, v25, s[0:1]
	v_alignbit_b32 v31, v28, v29, v30
	v_cmp_eq_u32_e64 s[4:5], 0, v22
	v_cndmask_b32_e64 v27, v33, v0, s[2:3]
	v_cndmask_b32_e64 v22, v31, v28, s[4:5]
	v_alignbit_b32 v28, v29, v27, v30
	v_cndmask_b32_e64 v28, v28, v29, s[4:5]
	v_bfe_u32 v32, v22, 29, 1
	v_cndmask_b32_e32 v21, v26, v21, vcc
	v_alignbit_b32 v29, v22, v28, 30
	v_sub_u32_e32 v33, 0, v32
	v_cndmask_b32_e64 v21, v25, v21, s[0:1]
	v_xor_b32_e32 v34, v29, v33
	v_cndmask_b32_e64 v0, v0, v21, s[2:3]
	v_alignbit_b32 v21, v27, v0, v30
	v_ffbh_u32_e32 v26, v34
	v_cndmask_b32_e64 v21, v21, v27, s[4:5]
	v_add_u32_e32 v26, 1, v26
	v_cmp_ne_u32_e32 vcc, v29, v33
	v_alignbit_b32 v25, v28, v21, 30
	v_cndmask_b32_e32 v26, 33, v26, vcc
	v_alignbit_b32 v0, v21, v0, 30
	v_xor_b32_e32 v25, v25, v33
	v_sub_u32_e32 v27, 32, v26
	v_xor_b32_e32 v0, v0, v33
	v_alignbit_b32 v28, v34, v25, v27
	v_alignbit_b32 v0, v25, v0, v27
	;; [unrolled: 1-line block ×3, first 2 shown]
	v_ffbh_u32_e32 v25, v21
	v_min_u32_e32 v25, 32, v25
	v_lshrrev_b32_e32 v31, 29, v22
	v_sub_u32_e32 v27, 31, v25
	v_alignbit_b32 v0, v21, v0, v27
	v_lshlrev_b32_e32 v21, 31, v31
	v_or_b32_e32 v27, 0x33800000, v21
	v_add_lshl_u32 v25, v25, v26, 23
	v_lshrrev_b32_e32 v0, 9, v0
	v_sub_u32_e32 v25, v27, v25
	v_or_b32_e32 v0, v25, v0
	v_alignbit_b32 v25, v26, v28, 9
	v_or_b32_e32 v21, v25, v21
	v_xor_b32_e32 v21, 1.0, v21
	v_mul_f32_e32 v25, 0x3fc90fda, v21
	v_fma_f32 v26, v21, s22, -v25
	v_fmac_f32_e32 v26, 0x33a22168, v21
	v_fmac_f32_e32 v26, 0x3fc90fda, v0
	v_lshrrev_b32_e32 v0, 30, v22
	v_add_f32_e32 v21, v25, v26
	v_add_u32_e32 v22, v32, v0
.LBB0_5:                                ;   in Loop: Header=BB0_3 Depth=1
	s_or_saveexec_b64 s[0:1], s[10:11]
	v_mul_f32_e64 v0, |v19|, s23
	v_rndne_f32_e32 v26, v0
	s_xor_b64 exec, exec, s[0:1]
; %bb.6:                                ;   in Loop: Header=BB0_3 Depth=1
	v_cvt_i32_f32_e32 v22, v26
	v_fma_f32 v21, v26, s24, |v19|
	v_fmac_f32_e32 v21, 0xb3a22168, v26
	v_fmac_f32_e32 v21, 0xa7c234c4, v26
; %bb.7:                                ;   in Loop: Header=BB0_3 Depth=1
	s_or_b64 exec, exec, s[0:1]
                                        ; implicit-def: $vgpr25
                                        ; implicit-def: $vgpr0
	s_and_saveexec_b64 s[0:1], s[8:9]
	s_xor_b64 s[8:9], exec, s[0:1]
	s_cbranch_execz .LBB0_9
; %bb.8:                                ;   in Loop: Header=BB0_3 Depth=1
	v_mad_u64_u32 v[25:26], s[0:1], v23, s15, 0
	v_cmp_lt_u32_e32 vcc, 63, v24
	v_mov_b32_e32 v0, v26
	v_mad_u64_u32 v[26:27], s[0:1], v23, s16, v[0:1]
	v_mov_b32_e32 v0, v27
	v_mad_u64_u32 v[27:28], s[0:1], v23, s17, v[0:1]
	;; [unrolled: 2-line block ×3, first 2 shown]
	v_cndmask_b32_e32 v0, 0, v14, vcc
	v_add_u32_e32 v24, v0, v24
	v_mov_b32_e32 v0, v29
	v_mad_u64_u32 v[29:30], s[0:1], v23, s19, v[0:1]
	v_cmp_lt_u32_e64 s[0:1], 31, v24
	v_cndmask_b32_e64 v0, 0, v15, s[0:1]
	v_add_u32_e32 v24, v0, v24
	v_mov_b32_e32 v0, v30
	v_mad_u64_u32 v[30:31], s[2:3], v23, s20, v[0:1]
	v_cmp_lt_u32_e64 s[2:3], 31, v24
	v_cndmask_b32_e64 v0, 0, v15, s[2:3]
	v_add_u32_e32 v32, v0, v24
	v_mov_b32_e32 v0, v31
	v_mad_u64_u32 v[23:24], s[4:5], v23, s21, v[0:1]
	v_cndmask_b32_e32 v0, v29, v27, vcc
	v_cndmask_b32_e32 v31, v30, v28, vcc
	v_cndmask_b32_e32 v23, v23, v29, vcc
	v_cndmask_b32_e32 v24, v24, v30, vcc
	v_cndmask_b32_e64 v33, v31, v0, s[0:1]
	v_cndmask_b32_e64 v29, v23, v31, s[0:1]
	;; [unrolled: 1-line block ×3, first 2 shown]
	v_cndmask_b32_e32 v26, v28, v26, vcc
	v_cndmask_b32_e64 v23, v23, v29, s[2:3]
	v_cndmask_b32_e64 v24, v29, v33, s[2:3]
	v_sub_u32_e32 v29, 32, v32
	v_cndmask_b32_e64 v0, v0, v26, s[0:1]
	v_alignbit_b32 v30, v23, v24, v29
	v_cmp_eq_u32_e64 s[4:5], 0, v32
	v_cndmask_b32_e64 v28, v33, v0, s[2:3]
	v_cndmask_b32_e64 v23, v30, v23, s[4:5]
	v_alignbit_b32 v30, v24, v28, v29
	v_cndmask_b32_e64 v24, v30, v24, s[4:5]
	v_bfe_u32 v32, v23, 29, 1
	v_cndmask_b32_e32 v25, v27, v25, vcc
	v_alignbit_b32 v30, v23, v24, 30
	v_sub_u32_e32 v33, 0, v32
	v_cndmask_b32_e64 v25, v26, v25, s[0:1]
	v_xor_b32_e32 v34, v30, v33
	v_cndmask_b32_e64 v0, v0, v25, s[2:3]
	v_alignbit_b32 v25, v28, v0, v29
	v_ffbh_u32_e32 v26, v34
	v_cndmask_b32_e64 v25, v25, v28, s[4:5]
	v_add_u32_e32 v26, 1, v26
	v_cmp_ne_u32_e32 vcc, v30, v33
	v_alignbit_b32 v24, v24, v25, 30
	v_cndmask_b32_e32 v26, 33, v26, vcc
	v_alignbit_b32 v0, v25, v0, 30
	v_xor_b32_e32 v24, v24, v33
	v_sub_u32_e32 v27, 32, v26
	v_xor_b32_e32 v0, v0, v33
	v_alignbit_b32 v28, v34, v24, v27
	v_alignbit_b32 v0, v24, v0, v27
	;; [unrolled: 1-line block ×3, first 2 shown]
	v_ffbh_u32_e32 v25, v24
	v_min_u32_e32 v25, 32, v25
	v_lshrrev_b32_e32 v31, 29, v23
	v_sub_u32_e32 v27, 31, v25
	v_alignbit_b32 v0, v24, v0, v27
	v_lshlrev_b32_e32 v24, 31, v31
	v_or_b32_e32 v27, 0x33800000, v24
	v_add_lshl_u32 v25, v25, v26, 23
	v_lshrrev_b32_e32 v0, 9, v0
	v_sub_u32_e32 v25, v27, v25
	v_or_b32_e32 v0, v25, v0
	v_alignbit_b32 v25, v26, v28, 9
	v_or_b32_e32 v24, v25, v24
	v_xor_b32_e32 v24, 1.0, v24
	v_mul_f32_e32 v25, 0x3fc90fda, v24
	v_fma_f32 v26, v24, s22, -v25
	v_fmac_f32_e32 v26, 0x33a22168, v24
	v_fmac_f32_e32 v26, 0x3fc90fda, v0
	v_lshrrev_b32_e32 v23, 30, v23
	v_add_f32_e32 v0, v25, v26
	v_add_u32_e32 v25, v32, v23
                                        ; implicit-def: $vgpr26
	s_andn2_saveexec_b64 s[0:1], s[8:9]
	s_cbranch_execnz .LBB0_10
	s_branch .LBB0_11
.LBB0_9:                                ;   in Loop: Header=BB0_3 Depth=1
	s_andn2_saveexec_b64 s[0:1], s[8:9]
.LBB0_10:                               ;   in Loop: Header=BB0_3 Depth=1
	v_cvt_i32_f32_e32 v25, v26
	v_fma_f32 v0, v26, s24, |v19|
	v_fmac_f32_e32 v0, 0xb3a22168, v26
	v_fmac_f32_e32 v0, 0xa7c234c4, v26
.LBB0_11:                               ;   in Loop: Header=BB0_3 Depth=1
	s_or_b64 exec, exec, s[0:1]
	v_cmp_nlt_f32_e64 s[0:1], |v19|, s25
                                        ; implicit-def: $vgpr23
	s_and_saveexec_b64 s[2:3], s[0:1]
	s_xor_b64 s[0:1], exec, s[2:3]
	s_cbranch_execz .LBB0_13
; %bb.12:                               ;   in Loop: Header=BB0_3 Depth=1
	v_add_f32_e64 v23, |v19|, |v19|
	v_mul_f32_e32 v24, 0x3fb8aa3b, v23
	v_rndne_f32_e32 v26, v24
	v_sub_f32_e32 v27, v24, v26
	v_fma_f32 v24, v23, s26, -v24
	v_fmac_f32_e32 v24, 0x32a5705f, v23
	v_add_f32_e32 v24, v27, v24
	v_cvt_i32_f32_e32 v26, v26
	v_exp_f32_e32 v24, v24
	v_cmp_ngt_f32_e32 vcc, s27, v23
	v_ldexp_f32 v24, v24, v26
	v_cndmask_b32_e32 v24, 0, v24, vcc
	v_cmp_nlt_f32_e32 vcc, s28, v23
	v_mov_b32_e32 v23, 0x7f800000
	v_cndmask_b32_e32 v23, v23, v24, vcc
	v_add_f32_e32 v23, 1.0, v23
	v_rcp_f32_e32 v23, v23
	v_fma_f32 v23, v23, -2.0, 1.0
.LBB0_13:                               ;   in Loop: Header=BB0_3 Depth=1
	s_andn2_saveexec_b64 s[0:1], s[0:1]
	s_cbranch_execz .LBB0_2
; %bb.14:                               ;   in Loop: Header=BB0_3 Depth=1
	v_mul_f32_e32 v23, v19, v19
	v_mov_b32_e32 v24, 0x3ca908c9
	v_fmac_f32_e32 v24, 0xbbbac73d, v23
	v_fma_f32 v24, v23, v24, v7
	v_fma_f32 v24, v23, v24, v8
	;; [unrolled: 1-line block ×3, first 2 shown]
	v_mul_f32_e64 v24, |v19|, v24
	v_fma_f32 v23, v23, v24, |v19|
	s_branch .LBB0_2
.LBB0_15:
	s_endpgm
	.section	.rodata,"a",@progbits
	.p2align	6, 0x0
	.amdhsa_kernel math_ops_f32
		.amdhsa_group_segment_fixed_size 0
		.amdhsa_private_segment_fixed_size 0
		.amdhsa_kernarg_size 272
		.amdhsa_user_sgpr_count 6
		.amdhsa_user_sgpr_private_segment_buffer 1
		.amdhsa_user_sgpr_dispatch_ptr 0
		.amdhsa_user_sgpr_queue_ptr 0
		.amdhsa_user_sgpr_kernarg_segment_ptr 1
		.amdhsa_user_sgpr_dispatch_id 0
		.amdhsa_user_sgpr_flat_scratch_init 0
		.amdhsa_user_sgpr_private_segment_size 0
		.amdhsa_uses_dynamic_stack 0
		.amdhsa_system_sgpr_private_segment_wavefront_offset 0
		.amdhsa_system_sgpr_workgroup_id_x 1
		.amdhsa_system_sgpr_workgroup_id_y 0
		.amdhsa_system_sgpr_workgroup_id_z 0
		.amdhsa_system_sgpr_workgroup_info 0
		.amdhsa_system_vgpr_workitem_id 0
		.amdhsa_next_free_vgpr 35
		.amdhsa_next_free_sgpr 36
		.amdhsa_reserve_vcc 1
		.amdhsa_reserve_flat_scratch 0
		.amdhsa_float_round_mode_32 0
		.amdhsa_float_round_mode_16_64 0
		.amdhsa_float_denorm_mode_32 3
		.amdhsa_float_denorm_mode_16_64 3
		.amdhsa_dx10_clamp 1
		.amdhsa_ieee_mode 1
		.amdhsa_fp16_overflow 0
		.amdhsa_exception_fp_ieee_invalid_op 0
		.amdhsa_exception_fp_denorm_src 0
		.amdhsa_exception_fp_ieee_div_zero 0
		.amdhsa_exception_fp_ieee_overflow 0
		.amdhsa_exception_fp_ieee_underflow 0
		.amdhsa_exception_fp_ieee_inexact 0
		.amdhsa_exception_int_div_zero 0
	.end_amdhsa_kernel
	.text
.Lfunc_end0:
	.size	math_ops_f32, .Lfunc_end0-math_ops_f32
                                        ; -- End function
	.section	.AMDGPU.csdata,"",@progbits
; Kernel info:
; codeLenInByte = 2240
; NumSgprs: 40
; NumVgprs: 35
; ScratchSize: 0
; MemoryBound: 0
; FloatMode: 240
; IeeeMode: 1
; LDSByteSize: 0 bytes/workgroup (compile time only)
; SGPRBlocks: 4
; VGPRBlocks: 8
; NumSGPRsForWavesPerEU: 40
; NumVGPRsForWavesPerEU: 35
; Occupancy: 7
; WaveLimiterHint : 0
; COMPUTE_PGM_RSRC2:SCRATCH_EN: 0
; COMPUTE_PGM_RSRC2:USER_SGPR: 6
; COMPUTE_PGM_RSRC2:TRAP_HANDLER: 0
; COMPUTE_PGM_RSRC2:TGID_X_EN: 1
; COMPUTE_PGM_RSRC2:TGID_Y_EN: 0
; COMPUTE_PGM_RSRC2:TGID_Z_EN: 0
; COMPUTE_PGM_RSRC2:TIDIG_COMP_CNT: 0
	.text
	.protected	math_ops_f16            ; -- Begin function math_ops_f16
	.globl	math_ops_f16
	.p2align	8
	.type	math_ops_f16,@function
math_ops_f16:                           ; @math_ops_f16
; %bb.0:
	s_load_dword s0, s[4:5], 0x1c
	s_waitcnt lgkmcnt(0)
	s_and_b32 s0, s0, 0xffff
	s_mul_i32 s6, s6, s0
	v_add_u32_e32 v0, s6, v0
	s_mov_b32 s0, 0x10000
	v_cmp_gt_u32_e32 vcc, s0, v0
	s_and_saveexec_b64 s[0:1], vcc
	s_cbranch_execz .LBB1_3
; %bb.1:
	s_load_dwordx4 s[0:3], s[4:5], 0x0
	v_mov_b32_e32 v1, 0
	v_lshlrev_b64 v[2:3], 1, v[0:1]
	v_add_u32_e32 v4, 0xffffc000, v0
	s_waitcnt lgkmcnt(0)
	v_mov_b32_e32 v1, s1
	v_add_co_u32_e32 v0, vcc, s0, v2
	v_addc_co_u32_e32 v1, vcc, v1, v3, vcc
	v_mov_b32_e32 v5, s3
	v_add_co_u32_e32 v2, vcc, s2, v2
	v_addc_co_u32_e32 v3, vcc, v5, v3, vcc
	s_mov_b64 s[0:1], 0
	s_mov_b32 s2, 0xbfff
.LBB1_2:                                ; =>This Inner Loop Header: Depth=1
	global_load_ushort v5, v[0:1], off
	v_add_co_u32_e32 v0, vcc, 0x8000, v0
	v_add_u32_e32 v4, 0x4000, v4
	v_addc_co_u32_e32 v1, vcc, 0, v1, vcc
	v_cmp_lt_u32_e32 vcc, s2, v4
	s_or_b64 s[0:1], vcc, s[0:1]
	s_waitcnt vmcnt(0)
	v_cvt_f32_f16_e32 v6, v5
	v_add_f16_e64 v5, |v5|, 1.0
	v_rsq_f16_e32 v5, v5
	v_mul_f32_e32 v6, 0x3fb8aa3b, v6
	v_exp_f32_e32 v6, v6
	v_cvt_f16_f32_e32 v6, v6
	v_add_f16_e32 v5, v5, v6
	global_store_short v[2:3], v5, off
	v_add_co_u32_e32 v2, vcc, 0x8000, v2
	v_addc_co_u32_e32 v3, vcc, 0, v3, vcc
	s_andn2_b64 exec, exec, s[0:1]
	s_cbranch_execnz .LBB1_2
.LBB1_3:
	s_endpgm
	.section	.rodata,"a",@progbits
	.p2align	6, 0x0
	.amdhsa_kernel math_ops_f16
		.amdhsa_group_segment_fixed_size 0
		.amdhsa_private_segment_fixed_size 0
		.amdhsa_kernarg_size 272
		.amdhsa_user_sgpr_count 6
		.amdhsa_user_sgpr_private_segment_buffer 1
		.amdhsa_user_sgpr_dispatch_ptr 0
		.amdhsa_user_sgpr_queue_ptr 0
		.amdhsa_user_sgpr_kernarg_segment_ptr 1
		.amdhsa_user_sgpr_dispatch_id 0
		.amdhsa_user_sgpr_flat_scratch_init 0
		.amdhsa_user_sgpr_private_segment_size 0
		.amdhsa_uses_dynamic_stack 0
		.amdhsa_system_sgpr_private_segment_wavefront_offset 0
		.amdhsa_system_sgpr_workgroup_id_x 1
		.amdhsa_system_sgpr_workgroup_id_y 0
		.amdhsa_system_sgpr_workgroup_id_z 0
		.amdhsa_system_sgpr_workgroup_info 0
		.amdhsa_system_vgpr_workitem_id 0
		.amdhsa_next_free_vgpr 7
		.amdhsa_next_free_sgpr 7
		.amdhsa_reserve_vcc 1
		.amdhsa_reserve_flat_scratch 0
		.amdhsa_float_round_mode_32 0
		.amdhsa_float_round_mode_16_64 0
		.amdhsa_float_denorm_mode_32 3
		.amdhsa_float_denorm_mode_16_64 3
		.amdhsa_dx10_clamp 1
		.amdhsa_ieee_mode 1
		.amdhsa_fp16_overflow 0
		.amdhsa_exception_fp_ieee_invalid_op 0
		.amdhsa_exception_fp_denorm_src 0
		.amdhsa_exception_fp_ieee_div_zero 0
		.amdhsa_exception_fp_ieee_overflow 0
		.amdhsa_exception_fp_ieee_underflow 0
		.amdhsa_exception_fp_ieee_inexact 0
		.amdhsa_exception_int_div_zero 0
	.end_amdhsa_kernel
	.text
.Lfunc_end1:
	.size	math_ops_f16, .Lfunc_end1-math_ops_f16
                                        ; -- End function
	.section	.AMDGPU.csdata,"",@progbits
; Kernel info:
; codeLenInByte = 224
; NumSgprs: 11
; NumVgprs: 7
; ScratchSize: 0
; MemoryBound: 0
; FloatMode: 240
; IeeeMode: 1
; LDSByteSize: 0 bytes/workgroup (compile time only)
; SGPRBlocks: 1
; VGPRBlocks: 1
; NumSGPRsForWavesPerEU: 11
; NumVGPRsForWavesPerEU: 7
; Occupancy: 8
; WaveLimiterHint : 0
; COMPUTE_PGM_RSRC2:SCRATCH_EN: 0
; COMPUTE_PGM_RSRC2:USER_SGPR: 6
; COMPUTE_PGM_RSRC2:TRAP_HANDLER: 0
; COMPUTE_PGM_RSRC2:TGID_X_EN: 1
; COMPUTE_PGM_RSRC2:TGID_Y_EN: 0
; COMPUTE_PGM_RSRC2:TGID_Z_EN: 0
; COMPUTE_PGM_RSRC2:TIDIG_COMP_CNT: 0
	.type	__hip_cuid_22ae9009acac3e6c,@object ; @__hip_cuid_22ae9009acac3e6c
	.section	.bss,"aw",@nobits
	.globl	__hip_cuid_22ae9009acac3e6c
__hip_cuid_22ae9009acac3e6c:
	.byte	0                               ; 0x0
	.size	__hip_cuid_22ae9009acac3e6c, 1

	.ident	"AMD clang version 19.0.0git (https://github.com/RadeonOpenCompute/llvm-project roc-6.4.0 25133 c7fe45cf4b819c5991fe208aaa96edf142730f1d)"
	.section	".note.GNU-stack","",@progbits
	.addrsig
	.addrsig_sym __hip_cuid_22ae9009acac3e6c
	.amdgpu_metadata
---
amdhsa.kernels:
  - .args:
      - .address_space:  global
        .offset:         0
        .size:           8
        .value_kind:     global_buffer
      - .address_space:  global
        .offset:         8
        .size:           8
        .value_kind:     global_buffer
      - .offset:         16
        .size:           4
        .value_kind:     hidden_block_count_x
      - .offset:         20
        .size:           4
        .value_kind:     hidden_block_count_y
      - .offset:         24
        .size:           4
        .value_kind:     hidden_block_count_z
      - .offset:         28
        .size:           2
        .value_kind:     hidden_group_size_x
      - .offset:         30
        .size:           2
        .value_kind:     hidden_group_size_y
      - .offset:         32
        .size:           2
        .value_kind:     hidden_group_size_z
      - .offset:         34
        .size:           2
        .value_kind:     hidden_remainder_x
      - .offset:         36
        .size:           2
        .value_kind:     hidden_remainder_y
      - .offset:         38
        .size:           2
        .value_kind:     hidden_remainder_z
      - .offset:         56
        .size:           8
        .value_kind:     hidden_global_offset_x
      - .offset:         64
        .size:           8
        .value_kind:     hidden_global_offset_y
      - .offset:         72
        .size:           8
        .value_kind:     hidden_global_offset_z
      - .offset:         80
        .size:           2
        .value_kind:     hidden_grid_dims
    .group_segment_fixed_size: 0
    .kernarg_segment_align: 8
    .kernarg_segment_size: 272
    .language:       OpenCL C
    .language_version:
      - 2
      - 0
    .max_flat_workgroup_size: 1024
    .name:           math_ops_f32
    .private_segment_fixed_size: 0
    .sgpr_count:     40
    .sgpr_spill_count: 0
    .symbol:         math_ops_f32.kd
    .uniform_work_group_size: 1
    .uses_dynamic_stack: false
    .vgpr_count:     35
    .vgpr_spill_count: 0
    .wavefront_size: 64
  - .args:
      - .address_space:  global
        .offset:         0
        .size:           8
        .value_kind:     global_buffer
      - .address_space:  global
        .offset:         8
        .size:           8
        .value_kind:     global_buffer
      - .offset:         16
        .size:           4
        .value_kind:     hidden_block_count_x
      - .offset:         20
        .size:           4
        .value_kind:     hidden_block_count_y
      - .offset:         24
        .size:           4
        .value_kind:     hidden_block_count_z
      - .offset:         28
        .size:           2
        .value_kind:     hidden_group_size_x
      - .offset:         30
        .size:           2
        .value_kind:     hidden_group_size_y
      - .offset:         32
        .size:           2
        .value_kind:     hidden_group_size_z
      - .offset:         34
        .size:           2
        .value_kind:     hidden_remainder_x
      - .offset:         36
        .size:           2
        .value_kind:     hidden_remainder_y
      - .offset:         38
        .size:           2
        .value_kind:     hidden_remainder_z
      - .offset:         56
        .size:           8
        .value_kind:     hidden_global_offset_x
      - .offset:         64
        .size:           8
        .value_kind:     hidden_global_offset_y
      - .offset:         72
        .size:           8
        .value_kind:     hidden_global_offset_z
      - .offset:         80
        .size:           2
        .value_kind:     hidden_grid_dims
    .group_segment_fixed_size: 0
    .kernarg_segment_align: 8
    .kernarg_segment_size: 272
    .language:       OpenCL C
    .language_version:
      - 2
      - 0
    .max_flat_workgroup_size: 1024
    .name:           math_ops_f16
    .private_segment_fixed_size: 0
    .sgpr_count:     11
    .sgpr_spill_count: 0
    .symbol:         math_ops_f16.kd
    .uniform_work_group_size: 1
    .uses_dynamic_stack: false
    .vgpr_count:     7
    .vgpr_spill_count: 0
    .wavefront_size: 64
amdhsa.target:   amdgcn-amd-amdhsa--gfx906
amdhsa.version:
  - 1
  - 2
...

	.end_amdgpu_metadata
